;; amdgpu-corpus repo=ROCm/rocFFT kind=compiled arch=gfx1201 opt=O3
	.text
	.amdgcn_target "amdgcn-amd-amdhsa--gfx1201"
	.amdhsa_code_object_version 6
	.protected	fft_rtc_fwd_len2304_factors_6_6_4_4_4_wgs_192_tpt_192_halfLds_sp_op_CI_CI_sbrr_dirReg ; -- Begin function fft_rtc_fwd_len2304_factors_6_6_4_4_4_wgs_192_tpt_192_halfLds_sp_op_CI_CI_sbrr_dirReg
	.globl	fft_rtc_fwd_len2304_factors_6_6_4_4_4_wgs_192_tpt_192_halfLds_sp_op_CI_CI_sbrr_dirReg
	.p2align	8
	.type	fft_rtc_fwd_len2304_factors_6_6_4_4_4_wgs_192_tpt_192_halfLds_sp_op_CI_CI_sbrr_dirReg,@function
fft_rtc_fwd_len2304_factors_6_6_4_4_4_wgs_192_tpt_192_halfLds_sp_op_CI_CI_sbrr_dirReg: ; @fft_rtc_fwd_len2304_factors_6_6_4_4_4_wgs_192_tpt_192_halfLds_sp_op_CI_CI_sbrr_dirReg
; %bb.0:
	s_clause 0x2
	s_load_b128 s[12:15], s[0:1], 0x18
	s_load_b128 s[8:11], s[0:1], 0x0
	;; [unrolled: 1-line block ×3, first 2 shown]
	v_mul_u32_u24_e32 v1, 0x156, v0
	v_mov_b32_e32 v7, 0
	v_mov_b32_e32 v5, 0
	;; [unrolled: 1-line block ×3, first 2 shown]
	s_wait_kmcnt 0x0
	s_load_b64 s[18:19], s[12:13], 0x0
	s_load_b64 s[16:17], s[14:15], 0x0
	v_lshrrev_b32_e32 v1, 16, v1
	v_cmp_lt_u64_e64 s2, s[10:11], 2
	s_delay_alu instid0(VALU_DEP_2) | instskip(NEXT) | instid1(VALU_DEP_2)
	v_dual_mov_b32 v10, v7 :: v_dual_add_nc_u32 v9, ttmp9, v1
	s_and_b32 vcc_lo, exec_lo, s2
	s_cbranch_vccnz .LBB0_8
; %bb.1:
	s_load_b64 s[2:3], s[0:1], 0x10
	v_mov_b32_e32 v5, 0
	v_mov_b32_e32 v6, 0
	s_delay_alu instid0(VALU_DEP_2)
	v_mov_b32_e32 v1, v5
	s_add_nc_u64 s[20:21], s[14:15], 8
	s_add_nc_u64 s[22:23], s[12:13], 8
	s_mov_b64 s[24:25], 1
	v_mov_b32_e32 v2, v6
	s_wait_kmcnt 0x0
	s_add_nc_u64 s[26:27], s[2:3], 8
	s_mov_b32 s3, 0
.LBB0_2:                                ; =>This Inner Loop Header: Depth=1
	s_load_b64 s[28:29], s[26:27], 0x0
                                        ; implicit-def: $vgpr3_vgpr4
	s_mov_b32 s2, exec_lo
	s_wait_kmcnt 0x0
	v_or_b32_e32 v8, s29, v10
	s_delay_alu instid0(VALU_DEP_1)
	v_cmpx_ne_u64_e32 0, v[7:8]
	s_wait_alu 0xfffe
	s_xor_b32 s30, exec_lo, s2
	s_cbranch_execz .LBB0_4
; %bb.3:                                ;   in Loop: Header=BB0_2 Depth=1
	s_cvt_f32_u32 s2, s28
	s_cvt_f32_u32 s31, s29
	s_sub_nc_u64 s[36:37], 0, s[28:29]
	s_wait_alu 0xfffe
	s_delay_alu instid0(SALU_CYCLE_1) | instskip(SKIP_1) | instid1(SALU_CYCLE_2)
	s_fmamk_f32 s2, s31, 0x4f800000, s2
	s_wait_alu 0xfffe
	v_s_rcp_f32 s2, s2
	s_delay_alu instid0(TRANS32_DEP_1) | instskip(SKIP_1) | instid1(SALU_CYCLE_2)
	s_mul_f32 s2, s2, 0x5f7ffffc
	s_wait_alu 0xfffe
	s_mul_f32 s31, s2, 0x2f800000
	s_wait_alu 0xfffe
	s_delay_alu instid0(SALU_CYCLE_2) | instskip(SKIP_1) | instid1(SALU_CYCLE_2)
	s_trunc_f32 s31, s31
	s_wait_alu 0xfffe
	s_fmamk_f32 s2, s31, 0xcf800000, s2
	s_cvt_u32_f32 s35, s31
	s_wait_alu 0xfffe
	s_delay_alu instid0(SALU_CYCLE_1) | instskip(SKIP_1) | instid1(SALU_CYCLE_2)
	s_cvt_u32_f32 s34, s2
	s_wait_alu 0xfffe
	s_mul_u64 s[38:39], s[36:37], s[34:35]
	s_wait_alu 0xfffe
	s_mul_hi_u32 s41, s34, s39
	s_mul_i32 s40, s34, s39
	s_mul_hi_u32 s2, s34, s38
	s_mul_i32 s33, s35, s38
	s_wait_alu 0xfffe
	s_add_nc_u64 s[40:41], s[2:3], s[40:41]
	s_mul_hi_u32 s31, s35, s38
	s_mul_hi_u32 s42, s35, s39
	s_add_co_u32 s2, s40, s33
	s_wait_alu 0xfffe
	s_add_co_ci_u32 s2, s41, s31
	s_mul_i32 s38, s35, s39
	s_add_co_ci_u32 s39, s42, 0
	s_wait_alu 0xfffe
	s_add_nc_u64 s[38:39], s[2:3], s[38:39]
	s_wait_alu 0xfffe
	v_add_co_u32 v3, s2, s34, s38
	s_delay_alu instid0(VALU_DEP_1) | instskip(SKIP_1) | instid1(VALU_DEP_1)
	s_cmp_lg_u32 s2, 0
	s_add_co_ci_u32 s35, s35, s39
	v_readfirstlane_b32 s34, v3
	s_wait_alu 0xfffe
	s_delay_alu instid0(VALU_DEP_1)
	s_mul_u64 s[36:37], s[36:37], s[34:35]
	s_wait_alu 0xfffe
	s_mul_hi_u32 s39, s34, s37
	s_mul_i32 s38, s34, s37
	s_mul_hi_u32 s2, s34, s36
	s_mul_i32 s33, s35, s36
	s_wait_alu 0xfffe
	s_add_nc_u64 s[38:39], s[2:3], s[38:39]
	s_mul_hi_u32 s31, s35, s36
	s_mul_hi_u32 s34, s35, s37
	s_wait_alu 0xfffe
	s_add_co_u32 s2, s38, s33
	s_add_co_ci_u32 s2, s39, s31
	s_mul_i32 s36, s35, s37
	s_add_co_ci_u32 s37, s34, 0
	s_wait_alu 0xfffe
	s_add_nc_u64 s[36:37], s[2:3], s[36:37]
	s_wait_alu 0xfffe
	v_add_co_u32 v8, s2, v3, s36
	s_delay_alu instid0(VALU_DEP_1) | instskip(SKIP_1) | instid1(VALU_DEP_1)
	s_cmp_lg_u32 s2, 0
	s_add_co_ci_u32 s2, s35, s37
	v_mul_hi_u32 v15, v9, v8
	s_wait_alu 0xfffe
	v_mad_co_u64_u32 v[3:4], null, v9, s2, 0
	v_mad_co_u64_u32 v[11:12], null, v10, v8, 0
	;; [unrolled: 1-line block ×3, first 2 shown]
	s_delay_alu instid0(VALU_DEP_3) | instskip(SKIP_1) | instid1(VALU_DEP_4)
	v_add_co_u32 v3, vcc_lo, v15, v3
	s_wait_alu 0xfffd
	v_add_co_ci_u32_e32 v4, vcc_lo, 0, v4, vcc_lo
	s_delay_alu instid0(VALU_DEP_2) | instskip(SKIP_1) | instid1(VALU_DEP_2)
	v_add_co_u32 v3, vcc_lo, v3, v11
	s_wait_alu 0xfffd
	v_add_co_ci_u32_e32 v3, vcc_lo, v4, v12, vcc_lo
	s_wait_alu 0xfffd
	v_add_co_ci_u32_e32 v4, vcc_lo, 0, v14, vcc_lo
	s_delay_alu instid0(VALU_DEP_2) | instskip(SKIP_1) | instid1(VALU_DEP_2)
	v_add_co_u32 v8, vcc_lo, v3, v13
	s_wait_alu 0xfffd
	v_add_co_ci_u32_e32 v11, vcc_lo, 0, v4, vcc_lo
	s_delay_alu instid0(VALU_DEP_2) | instskip(SKIP_1) | instid1(VALU_DEP_3)
	v_mul_lo_u32 v12, s29, v8
	v_mad_co_u64_u32 v[3:4], null, s28, v8, 0
	v_mul_lo_u32 v13, s28, v11
	s_delay_alu instid0(VALU_DEP_2) | instskip(NEXT) | instid1(VALU_DEP_2)
	v_sub_co_u32 v3, vcc_lo, v9, v3
	v_add3_u32 v4, v4, v13, v12
	s_delay_alu instid0(VALU_DEP_1) | instskip(SKIP_1) | instid1(VALU_DEP_1)
	v_sub_nc_u32_e32 v12, v10, v4
	s_wait_alu 0xfffd
	v_subrev_co_ci_u32_e64 v12, s2, s29, v12, vcc_lo
	v_add_co_u32 v13, s2, v8, 2
	s_wait_alu 0xf1ff
	v_add_co_ci_u32_e64 v14, s2, 0, v11, s2
	v_sub_co_u32 v15, s2, v3, s28
	v_sub_co_ci_u32_e32 v4, vcc_lo, v10, v4, vcc_lo
	s_wait_alu 0xf1ff
	v_subrev_co_ci_u32_e64 v12, s2, 0, v12, s2
	s_delay_alu instid0(VALU_DEP_3) | instskip(NEXT) | instid1(VALU_DEP_3)
	v_cmp_le_u32_e32 vcc_lo, s28, v15
	v_cmp_eq_u32_e64 s2, s29, v4
	s_wait_alu 0xfffd
	v_cndmask_b32_e64 v15, 0, -1, vcc_lo
	v_cmp_le_u32_e32 vcc_lo, s29, v12
	s_wait_alu 0xfffd
	v_cndmask_b32_e64 v16, 0, -1, vcc_lo
	v_cmp_le_u32_e32 vcc_lo, s28, v3
	;; [unrolled: 3-line block ×3, first 2 shown]
	s_wait_alu 0xfffd
	v_cndmask_b32_e64 v17, 0, -1, vcc_lo
	v_cmp_eq_u32_e32 vcc_lo, s29, v12
	s_wait_alu 0xf1ff
	s_delay_alu instid0(VALU_DEP_2)
	v_cndmask_b32_e64 v3, v17, v3, s2
	s_wait_alu 0xfffd
	v_cndmask_b32_e32 v12, v16, v15, vcc_lo
	v_add_co_u32 v15, vcc_lo, v8, 1
	s_wait_alu 0xfffd
	v_add_co_ci_u32_e32 v16, vcc_lo, 0, v11, vcc_lo
	s_delay_alu instid0(VALU_DEP_3) | instskip(SKIP_1) | instid1(VALU_DEP_2)
	v_cmp_ne_u32_e32 vcc_lo, 0, v12
	s_wait_alu 0xfffd
	v_cndmask_b32_e32 v4, v16, v14, vcc_lo
	v_cndmask_b32_e32 v12, v15, v13, vcc_lo
	v_cmp_ne_u32_e32 vcc_lo, 0, v3
	s_wait_alu 0xfffd
	s_delay_alu instid0(VALU_DEP_3) | instskip(NEXT) | instid1(VALU_DEP_3)
	v_cndmask_b32_e32 v4, v11, v4, vcc_lo
	v_cndmask_b32_e32 v3, v8, v12, vcc_lo
.LBB0_4:                                ;   in Loop: Header=BB0_2 Depth=1
	s_wait_alu 0xfffe
	s_and_not1_saveexec_b32 s2, s30
	s_cbranch_execz .LBB0_6
; %bb.5:                                ;   in Loop: Header=BB0_2 Depth=1
	v_cvt_f32_u32_e32 v3, s28
	s_sub_co_i32 s30, 0, s28
	s_delay_alu instid0(VALU_DEP_1) | instskip(NEXT) | instid1(TRANS32_DEP_1)
	v_rcp_iflag_f32_e32 v3, v3
	v_mul_f32_e32 v3, 0x4f7ffffe, v3
	s_delay_alu instid0(VALU_DEP_1) | instskip(SKIP_1) | instid1(VALU_DEP_1)
	v_cvt_u32_f32_e32 v3, v3
	s_wait_alu 0xfffe
	v_mul_lo_u32 v4, s30, v3
	s_delay_alu instid0(VALU_DEP_1) | instskip(NEXT) | instid1(VALU_DEP_1)
	v_mul_hi_u32 v4, v3, v4
	v_add_nc_u32_e32 v3, v3, v4
	s_delay_alu instid0(VALU_DEP_1) | instskip(NEXT) | instid1(VALU_DEP_1)
	v_mul_hi_u32 v3, v9, v3
	v_mul_lo_u32 v4, v3, s28
	v_add_nc_u32_e32 v8, 1, v3
	s_delay_alu instid0(VALU_DEP_2) | instskip(NEXT) | instid1(VALU_DEP_1)
	v_sub_nc_u32_e32 v4, v9, v4
	v_subrev_nc_u32_e32 v11, s28, v4
	v_cmp_le_u32_e32 vcc_lo, s28, v4
	s_wait_alu 0xfffd
	s_delay_alu instid0(VALU_DEP_2) | instskip(NEXT) | instid1(VALU_DEP_1)
	v_dual_cndmask_b32 v4, v4, v11 :: v_dual_cndmask_b32 v3, v3, v8
	v_cmp_le_u32_e32 vcc_lo, s28, v4
	s_delay_alu instid0(VALU_DEP_2) | instskip(SKIP_2) | instid1(VALU_DEP_2)
	v_add_nc_u32_e32 v8, 1, v3
	v_mov_b32_e32 v4, v7
	s_wait_alu 0xfffd
	v_cndmask_b32_e32 v3, v3, v8, vcc_lo
.LBB0_6:                                ;   in Loop: Header=BB0_2 Depth=1
	s_wait_alu 0xfffe
	s_or_b32 exec_lo, exec_lo, s2
	v_mul_lo_u32 v8, v4, s28
	s_delay_alu instid0(VALU_DEP_2)
	v_mul_lo_u32 v13, v3, s29
	s_load_b64 s[30:31], s[22:23], 0x0
	v_mad_co_u64_u32 v[11:12], null, v3, s28, 0
	s_load_b64 s[28:29], s[20:21], 0x0
	s_add_nc_u64 s[24:25], s[24:25], 1
	s_add_nc_u64 s[20:21], s[20:21], 8
	s_wait_alu 0xfffe
	v_cmp_ge_u64_e64 s2, s[24:25], s[10:11]
	s_add_nc_u64 s[22:23], s[22:23], 8
	s_add_nc_u64 s[26:27], s[26:27], 8
	v_add3_u32 v8, v12, v13, v8
	v_sub_co_u32 v9, vcc_lo, v9, v11
	s_wait_alu 0xfffd
	s_delay_alu instid0(VALU_DEP_2) | instskip(SKIP_2) | instid1(VALU_DEP_1)
	v_sub_co_ci_u32_e32 v8, vcc_lo, v10, v8, vcc_lo
	s_and_b32 vcc_lo, exec_lo, s2
	s_wait_kmcnt 0x0
	v_mul_lo_u32 v10, s30, v8
	v_mul_lo_u32 v11, s31, v9
	v_mad_co_u64_u32 v[5:6], null, s30, v9, v[5:6]
	v_mul_lo_u32 v8, s28, v8
	v_mul_lo_u32 v12, s29, v9
	v_mad_co_u64_u32 v[1:2], null, s28, v9, v[1:2]
	s_delay_alu instid0(VALU_DEP_4) | instskip(NEXT) | instid1(VALU_DEP_2)
	v_add3_u32 v6, v11, v6, v10
	v_add3_u32 v2, v12, v2, v8
	s_wait_alu 0xfffe
	s_cbranch_vccnz .LBB0_9
; %bb.7:                                ;   in Loop: Header=BB0_2 Depth=1
	v_dual_mov_b32 v10, v4 :: v_dual_mov_b32 v9, v3
	s_branch .LBB0_2
.LBB0_8:
	v_dual_mov_b32 v1, v5 :: v_dual_mov_b32 v2, v6
	s_delay_alu instid0(VALU_DEP_2)
	v_dual_mov_b32 v3, v9 :: v_dual_mov_b32 v4, v10
.LBB0_9:
	s_load_b64 s[0:1], s[0:1], 0x28
	v_mul_hi_u32 v8, 0x1555556, v0
	s_lshl_b64 s[10:11], s[10:11], 3
                                        ; implicit-def: $vgpr30
                                        ; implicit-def: $vgpr32
                                        ; implicit-def: $vgpr31
	s_wait_kmcnt 0x0
	v_cmp_gt_u64_e32 vcc_lo, s[0:1], v[3:4]
	v_cmp_le_u64_e64 s0, s[0:1], v[3:4]
	s_delay_alu instid0(VALU_DEP_1)
	s_and_saveexec_b32 s1, s0
	s_wait_alu 0xfffe
	s_xor_b32 s0, exec_lo, s1
; %bb.10:
	v_mul_u32_u24_e32 v5, 0xc0, v8
                                        ; implicit-def: $vgpr8
	s_delay_alu instid0(VALU_DEP_1) | instskip(NEXT) | instid1(VALU_DEP_1)
	v_sub_nc_u32_e32 v30, v0, v5
                                        ; implicit-def: $vgpr0
                                        ; implicit-def: $vgpr5_vgpr6
	v_add_nc_u32_e32 v32, 0xc0, v30
	v_add_nc_u32_e32 v31, 0x180, v30
; %bb.11:
	s_wait_alu 0xfffe
	s_or_saveexec_b32 s1, s0
	s_add_nc_u64 s[2:3], s[14:15], s[10:11]
                                        ; implicit-def: $vgpr7
                                        ; implicit-def: $vgpr9
                                        ; implicit-def: $vgpr17
                                        ; implicit-def: $vgpr29
                                        ; implicit-def: $vgpr27
                                        ; implicit-def: $vgpr11
                                        ; implicit-def: $vgpr25
                                        ; implicit-def: $vgpr21
                                        ; implicit-def: $vgpr23
                                        ; implicit-def: $vgpr19
                                        ; implicit-def: $vgpr15
                                        ; implicit-def: $vgpr13
	s_wait_alu 0xfffe
	s_xor_b32 exec_lo, exec_lo, s1
	s_cbranch_execz .LBB0_13
; %bb.12:
	v_mul_u32_u24_e32 v7, 0xc0, v8
	s_add_nc_u64 s[10:11], s[12:13], s[10:11]
	v_lshlrev_b64_e32 v[5:6], 3, v[5:6]
	s_load_b64 s[10:11], s[10:11], 0x0
	s_delay_alu instid0(VALU_DEP_2) | instskip(NEXT) | instid1(VALU_DEP_1)
	v_sub_nc_u32_e32 v30, v0, v7
	v_mad_co_u64_u32 v[7:8], null, s18, v30, 0
	v_add_nc_u32_e32 v31, 0x180, v30
	v_or_b32_e32 v20, 0x300, v30
	v_or_b32_e32 v22, 0x600, v30
	v_add_nc_u32_e32 v32, 0xc0, v30
	v_add_nc_u32_e32 v24, 0x240, v30
	v_dual_mov_b32 v0, v8 :: v_dual_add_nc_u32 v33, 0x540, v30
	v_mad_co_u64_u32 v[9:10], null, s18, v31, 0
	v_add_nc_u32_e32 v21, 0x480, v30
	v_mad_co_u64_u32 v[11:12], null, s18, v20, 0
	s_wait_kmcnt 0x0
	v_mul_lo_u32 v8, s11, v3
	v_mul_lo_u32 v19, s10, v4
	v_mad_co_u64_u32 v[15:16], null, s10, v3, 0
	v_mad_co_u64_u32 v[17:18], null, s19, v30, v[0:1]
	v_mov_b32_e32 v0, v10
	v_mad_co_u64_u32 v[13:14], null, s18, v21, 0
	v_mov_b32_e32 v10, v12
	v_add3_u32 v16, v16, v19, v8
	s_delay_alu instid0(VALU_DEP_4) | instskip(SKIP_2) | instid1(VALU_DEP_4)
	v_mad_co_u64_u32 v[18:19], null, s19, v31, v[0:1]
	v_mov_b32_e32 v8, v17
	v_mov_b32_e32 v12, v14
	v_lshlrev_b64_e32 v[14:15], 3, v[15:16]
	s_delay_alu instid0(VALU_DEP_3) | instskip(NEXT) | instid1(VALU_DEP_3)
	v_lshlrev_b64_e32 v[7:8], 3, v[7:8]
	v_mad_co_u64_u32 v[16:17], null, s19, v21, v[12:13]
	v_add_nc_u32_e32 v17, 0x780, v30
	v_mad_co_u64_u32 v[19:20], null, s19, v20, v[10:11]
	v_add_co_u32 v0, s0, s4, v14
	v_mov_b32_e32 v10, v18
	s_wait_alu 0xf1ff
	v_add_co_ci_u32_e64 v14, s0, s5, v15, s0
	s_delay_alu instid0(VALU_DEP_3)
	v_add_co_u32 v40, s0, v0, v5
	v_mov_b32_e32 v12, v19
	v_mad_co_u64_u32 v[18:19], null, s18, v22, 0
	s_wait_alu 0xf1ff
	v_add_co_ci_u32_e64 v41, s0, v14, v6, s0
	v_lshlrev_b64_e32 v[5:6], 3, v[9:10]
	v_add_co_u32 v7, s0, v40, v7
	v_lshlrev_b64_e32 v[9:10], 3, v[11:12]
	s_wait_alu 0xf1ff
	v_add_co_ci_u32_e64 v8, s0, v41, v8, s0
	s_delay_alu instid0(VALU_DEP_4)
	v_add_co_u32 v11, s0, v40, v5
	v_mov_b32_e32 v0, v19
	s_wait_alu 0xf1ff
	v_add_co_ci_u32_e64 v12, s0, v41, v6, s0
	v_mov_b32_e32 v14, v16
	v_add_co_u32 v15, s0, v40, v9
	v_mad_co_u64_u32 v[20:21], null, s18, v17, 0
	s_wait_alu 0xf1ff
	v_add_co_ci_u32_e64 v16, s0, v41, v10, s0
	v_mad_co_u64_u32 v[9:10], null, s19, v22, v[0:1]
	v_lshlrev_b64_e32 v[5:6], 3, v[13:14]
	v_mad_co_u64_u32 v[22:23], null, s18, v32, 0
	s_delay_alu instid0(VALU_DEP_3) | instskip(NEXT) | instid1(VALU_DEP_3)
	v_dual_mov_b32 v0, v21 :: v_dual_mov_b32 v19, v9
	v_add_co_u32 v13, s0, v40, v5
	s_wait_alu 0xf1ff
	s_delay_alu instid0(VALU_DEP_4) | instskip(NEXT) | instid1(VALU_DEP_3)
	v_add_co_ci_u32_e64 v14, s0, v41, v6, s0
	v_mad_co_u64_u32 v[5:6], null, s19, v17, v[0:1]
	v_mov_b32_e32 v0, v23
	s_clause 0x3
	global_load_b64 v[6:7], v[7:8], off
	global_load_b64 v[8:9], v[11:12], off
	;; [unrolled: 1-line block ×4, first 2 shown]
	v_lshlrev_b64_e32 v[10:11], 3, v[18:19]
	v_mad_co_u64_u32 v[18:19], null, s18, v24, 0
	v_mad_co_u64_u32 v[14:15], null, s19, v32, v[0:1]
	v_mov_b32_e32 v21, v5
	v_add_nc_u32_e32 v5, 0x3c0, v30
	v_add_co_u32 v10, s0, v40, v10
	v_mov_b32_e32 v0, v19
	s_delay_alu instid0(VALU_DEP_4) | instskip(SKIP_2) | instid1(VALU_DEP_4)
	v_lshlrev_b64_e32 v[20:21], 3, v[20:21]
	v_mov_b32_e32 v23, v14
	v_mad_co_u64_u32 v[14:15], null, s18, v5, 0
	v_mad_co_u64_u32 v[24:25], null, s19, v24, v[0:1]
	v_mad_co_u64_u32 v[25:26], null, s18, v33, 0
	s_delay_alu instid0(VALU_DEP_4) | instskip(SKIP_2) | instid1(VALU_DEP_4)
	v_lshlrev_b64_e32 v[22:23], 3, v[22:23]
	s_wait_alu 0xf1ff
	v_add_co_ci_u32_e64 v11, s0, v41, v11, s0
	v_dual_mov_b32 v0, v15 :: v_dual_mov_b32 v19, v24
	v_add_nc_u32_e32 v24, 0x6c0, v30
	v_add_co_u32 v20, s0, v40, v20
	s_delay_alu instid0(VALU_DEP_3) | instskip(SKIP_1) | instid1(VALU_DEP_4)
	v_mad_co_u64_u32 v[27:28], null, s19, v5, v[0:1]
	v_dual_mov_b32 v0, v26 :: v_dual_add_nc_u32 v5, 0x840, v30
	v_mad_co_u64_u32 v[28:29], null, s18, v24, 0
	v_lshlrev_b64_e32 v[18:19], 3, v[18:19]
	s_delay_alu instid0(VALU_DEP_3) | instskip(NEXT) | instid1(VALU_DEP_4)
	v_mad_co_u64_u32 v[33:34], null, s19, v33, v[0:1]
	v_mad_co_u64_u32 v[34:35], null, s18, v5, 0
	s_delay_alu instid0(VALU_DEP_4) | instskip(SKIP_2) | instid1(VALU_DEP_4)
	v_dual_mov_b32 v15, v27 :: v_dual_mov_b32 v0, v29
	s_wait_alu 0xf1ff
	v_add_co_ci_u32_e64 v21, s0, v41, v21, s0
	v_mov_b32_e32 v26, v33
	v_add_co_u32 v22, s0, v40, v22
	v_mad_co_u64_u32 v[36:37], null, s19, v24, v[0:1]
	v_mov_b32_e32 v0, v35
	v_lshlrev_b64_e32 v[14:15], 3, v[14:15]
	s_wait_alu 0xf1ff
	v_add_co_ci_u32_e64 v23, s0, v41, v23, s0
	v_add_co_u32 v18, s0, v40, v18
	v_mov_b32_e32 v29, v36
	v_mad_co_u64_u32 v[37:38], null, s19, v5, v[0:1]
	v_lshlrev_b64_e32 v[24:25], 3, v[25:26]
	s_wait_alu 0xf1ff
	v_add_co_ci_u32_e64 v19, s0, v41, v19, s0
	v_add_co_u32 v38, s0, v40, v14
	s_wait_alu 0xf1ff
	v_add_co_ci_u32_e64 v39, s0, v41, v15, s0
	v_mov_b32_e32 v35, v37
	v_lshlrev_b64_e32 v[14:15], 3, v[28:29]
	v_add_co_u32 v36, s0, v40, v24
	s_wait_alu 0xf1ff
	v_add_co_ci_u32_e64 v37, s0, v41, v25, s0
	v_lshlrev_b64_e32 v[24:25], 3, v[34:35]
	s_delay_alu instid0(VALU_DEP_4) | instskip(SKIP_2) | instid1(VALU_DEP_3)
	v_add_co_u32 v33, s0, v40, v14
	s_wait_alu 0xf1ff
	v_add_co_ci_u32_e64 v34, s0, v41, v15, s0
	v_add_co_u32 v40, s0, v40, v24
	s_wait_alu 0xf1ff
	v_add_co_ci_u32_e64 v41, s0, v41, v25, s0
	s_clause 0x7
	global_load_b64 v[28:29], v[10:11], off
	global_load_b64 v[26:27], v[20:21], off
	;; [unrolled: 1-line block ×8, first 2 shown]
.LBB0_13:
	s_or_b32 exec_lo, exec_lo, s1
	s_wait_loadcnt 0x7
	v_dual_add_f32 v0, v16, v28 :: v_dual_sub_f32 v33, v17, v29
	v_dual_add_f32 v5, v6, v16 :: v_dual_add_f32 v34, v17, v29
	v_sub_f32_e32 v16, v16, v28
	s_delay_alu instid0(VALU_DEP_3) | instskip(NEXT) | instid1(VALU_DEP_3)
	v_fmac_f32_e32 v6, -0.5, v0
	v_dual_add_f32 v0, v7, v17 :: v_dual_add_f32 v17, v5, v28
	s_delay_alu instid0(VALU_DEP_4) | instskip(SKIP_1) | instid1(VALU_DEP_3)
	v_dual_fmac_f32 v7, -0.5, v34 :: v_dual_add_f32 v34, v8, v12
	s_wait_loadcnt 0x6
	v_dual_fmamk_f32 v28, v33, 0x3f5db3d7, v6 :: v_dual_add_f32 v5, v26, v12
	s_delay_alu instid0(VALU_DEP_3) | instskip(SKIP_2) | instid1(VALU_DEP_4)
	v_add_f32_e32 v0, v0, v29
	v_add_f32_e32 v29, v27, v13
	v_dual_fmac_f32 v6, 0xbf5db3d7, v33 :: v_dual_fmamk_f32 v33, v16, 0xbf5db3d7, v7
	v_dual_fmac_f32 v8, -0.5, v5 :: v_dual_fmac_f32 v7, 0x3f5db3d7, v16
	v_sub_f32_e32 v5, v13, v27
	v_add_f32_e32 v13, v9, v13
	v_dual_fmac_f32 v9, -0.5, v29 :: v_dual_sub_f32 v12, v12, v26
	s_delay_alu instid0(VALU_DEP_3) | instskip(SKIP_1) | instid1(VALU_DEP_3)
	v_dual_add_f32 v29, v26, v34 :: v_dual_fmamk_f32 v16, v5, 0x3f5db3d7, v8
	v_fmac_f32_e32 v8, 0xbf5db3d7, v5
	v_dual_add_f32 v36, v27, v13 :: v_dual_fmamk_f32 v5, v12, 0xbf5db3d7, v9
	v_fmac_f32_e32 v9, 0x3f5db3d7, v12
	s_delay_alu instid0(VALU_DEP_4) | instskip(SKIP_1) | instid1(VALU_DEP_3)
	v_mul_f32_e32 v34, 0.5, v16
	s_load_b64 s[2:3], s[2:3], 0x0
	v_add_f32_e32 v26, v0, v36
	s_delay_alu instid0(VALU_DEP_3) | instskip(NEXT) | instid1(VALU_DEP_3)
	v_dual_mul_f32 v37, -0.5, v9 :: v_dual_and_b32 v44, 0xffff, v32
	v_dual_mul_f32 v35, -0.5, v8 :: v_dual_fmac_f32 v34, 0x3f5db3d7, v5
	v_mul_f32_e32 v16, 0xbf5db3d7, v16
	s_delay_alu instid0(VALU_DEP_3) | instskip(NEXT) | instid1(VALU_DEP_3)
	v_dual_add_f32 v12, v17, v29 :: v_dual_fmac_f32 v37, 0xbf5db3d7, v8
	v_fmac_f32_e32 v35, 0x3f5db3d7, v9
	s_delay_alu instid0(VALU_DEP_3) | instskip(SKIP_1) | instid1(VALU_DEP_4)
	v_dual_add_f32 v13, v28, v34 :: v_dual_fmac_f32 v16, 0.5, v5
	v_sub_f32_e32 v9, v17, v29
	v_dual_add_f32 v5, v7, v37 :: v_dual_sub_f32 v28, v28, v34
	s_delay_alu instid0(VALU_DEP_4) | instskip(NEXT) | instid1(VALU_DEP_4)
	v_sub_f32_e32 v29, v6, v35
	v_dual_add_f32 v8, v6, v35 :: v_dual_add_f32 v27, v33, v16
	v_sub_f32_e32 v6, v0, v36
	s_wait_loadcnt 0x1
	v_dual_add_f32 v0, v24, v22 :: v_dual_sub_f32 v33, v33, v16
	v_add_f32_e32 v16, v10, v24
	v_dual_sub_f32 v34, v7, v37 :: v_dual_add_f32 v7, v25, v23
	s_delay_alu instid0(VALU_DEP_3) | instskip(NEXT) | instid1(VALU_DEP_3)
	v_fmac_f32_e32 v10, -0.5, v0
	v_dual_sub_f32 v0, v25, v23 :: v_dual_add_f32 v17, v16, v22
	s_delay_alu instid0(VALU_DEP_3) | instskip(SKIP_3) | instid1(VALU_DEP_4)
	v_dual_add_f32 v16, v11, v25 :: v_dual_fmac_f32 v11, -0.5, v7
	v_sub_f32_e32 v7, v24, v22
	v_add_f32_e32 v22, v20, v14
	v_mul_u32_u24_e32 v57, 0xe38f, v44
	v_add_f32_e32 v23, v16, v23
	s_wait_loadcnt 0x0
	v_add_f32_e32 v16, v21, v19
	v_fmamk_f32 v24, v0, 0x3f5db3d7, v10
	v_dual_fmac_f32 v10, 0xbf5db3d7, v0 :: v_dual_fmamk_f32 v35, v7, 0xbf5db3d7, v11
	v_dual_add_f32 v0, v20, v18 :: v_dual_fmac_f32 v11, 0x3f5db3d7, v7
	v_lshrrev_b32_e32 v59, 21, v57
	v_cmp_gt_u32_e64 s0, 0x90, v30
	s_delay_alu instid0(VALU_DEP_3) | instskip(SKIP_2) | instid1(VALU_DEP_1)
	v_fmac_f32_e32 v14, -0.5, v0
	v_sub_f32_e32 v0, v21, v19
	v_add_f32_e32 v21, v21, v15
	v_add_f32_e32 v37, v19, v21
	s_delay_alu instid0(VALU_DEP_3) | instskip(SKIP_2) | instid1(VALU_DEP_3)
	v_fmamk_f32 v7, v0, 0x3f5db3d7, v14
	v_dual_fmac_f32 v15, -0.5, v16 :: v_dual_sub_f32 v16, v20, v18
	v_fmac_f32_e32 v14, 0xbf5db3d7, v0
	v_dual_add_f32 v0, v18, v22 :: v_dual_mul_f32 v25, 0.5, v7
	s_delay_alu instid0(VALU_DEP_3) | instskip(SKIP_2) | instid1(VALU_DEP_2)
	v_dual_mul_f32 v7, 0xbf5db3d7, v7 :: v_dual_fmamk_f32 v18, v16, 0xbf5db3d7, v15
	v_dual_fmac_f32 v15, 0x3f5db3d7, v16 :: v_dual_add_f32 v20, v23, v37
	v_sub_f32_e32 v23, v23, v37
	v_dual_fmac_f32 v7, 0.5, v18 :: v_dual_mul_f32 v38, -0.5, v15
	s_delay_alu instid0(VALU_DEP_1) | instskip(NEXT) | instid1(VALU_DEP_1)
	v_dual_add_f32 v21, v35, v7 :: v_dual_mul_f32 v36, -0.5, v14
	v_dual_sub_f32 v19, v17, v0 :: v_dual_fmac_f32 v36, 0x3f5db3d7, v15
	v_add_f32_e32 v15, v17, v0
	v_fmac_f32_e32 v25, 0x3f5db3d7, v18
	v_fmac_f32_e32 v38, 0xbf5db3d7, v14
	v_mul_u32_u24_e32 v14, 6, v30
	v_mul_i32_i24_e32 v17, 6, v32
	s_delay_alu instid0(VALU_DEP_4) | instskip(SKIP_1) | instid1(VALU_DEP_4)
	v_add_f32_e32 v16, v24, v25
	v_dual_add_f32 v18, v10, v36 :: v_dual_sub_f32 v35, v35, v7
	v_lshl_add_u32 v0, v14, 2, 0
	s_delay_alu instid0(VALU_DEP_4)
	v_lshl_add_u32 v17, v17, 2, 0
	v_dual_sub_f32 v24, v24, v25 :: v_dual_sub_f32 v25, v10, v36
	ds_store_2addr_b64 v0, v[12:13], v[8:9] offset1:1
	ds_store_b64 v0, v[28:29] offset:16
	ds_store_2addr_b64 v17, v[15:16], v[18:19] offset1:1
	ds_store_b64 v17, v[24:25] offset:16
	v_and_b32_e32 v16, 0xff, v30
	v_mul_u32_u24_e32 v8, 0xaaab, v44
	v_add_f32_e32 v22, v11, v38
	v_lshl_add_u32 v18, v31, 2, 0
	v_mad_i32_i24 v19, 0xffffffec, v32, v17
	v_mul_lo_u16 v7, 0xab, v16
	v_mul_lo_u16 v16, v16, 57
	v_lshrrev_b32_e32 v45, 18, v8
	global_wb scope:SCOPE_SE
	s_wait_dscnt 0x0
	s_wait_kmcnt 0x0
	s_barrier_signal -1
	v_lshrrev_b16 v43, 10, v7
	v_lshrrev_b16 v16, 11, v16
	s_barrier_wait -1
	global_inv scope:SCOPE_SE
	v_mul_u32_u24_e32 v61, 0x90, v45
	v_mul_lo_u16 v7, v43, 6
	v_mul_lo_u16 v44, v16, 36
	v_and_b32_e32 v43, 0xffff, v43
	s_delay_alu instid0(VALU_DEP_3) | instskip(NEXT) | instid1(VALU_DEP_3)
	v_sub_nc_u16 v7, v30, v7
	v_sub_nc_u16 v44, v30, v44
	v_sub_f32_e32 v36, v11, v38
	v_mad_i32_i24 v11, 0xffffffec, v30, v0
	v_mul_u32_u24_e32 v62, 0x90, v43
	v_and_b32_e32 v55, 0xff, v7
	v_and_b32_e32 v63, 0xff, v44
	v_mul_lo_u16 v7, v45, 6
	ds_load_2addr_stride64_b32 v[9:10], v11 offset1:9
	ds_load_2addr_stride64_b32 v[28:29], v11 offset0:12 offset1:15
	ds_load_2addr_stride64_b32 v[37:38], v11 offset0:18 offset1:21
	;; [unrolled: 1-line block ×4, first 2 shown]
	ds_load_b32 v53, v18
	ds_load_b32 v54, v19
	global_wb scope:SCOPE_SE
	s_wait_dscnt 0x0
	s_barrier_signal -1
	s_barrier_wait -1
	global_inv scope:SCOPE_SE
	ds_store_2addr_b64 v0, v[26:27], v[5:6] offset1:1
	ds_store_b64 v0, v[33:34] offset:16
	v_sub_nc_u16 v6, v32, v7
	v_mul_u32_u24_e32 v5, 5, v55
	ds_store_2addr_b64 v17, v[20:21], v[22:23] offset1:1
	ds_store_b64 v17, v[35:36] offset:16
	global_wb scope:SCOPE_SE
	s_wait_dscnt 0x0
	s_barrier_signal -1
	v_and_b32_e32 v56, 0xffff, v6
	v_lshlrev_b32_e32 v20, 3, v5
	s_barrier_wait -1
	global_inv scope:SCOPE_SE
	v_mul_u32_u24_e32 v67, 3, v63
	v_mul_u32_u24_e32 v21, 5, v56
	s_clause 0x1
	global_load_b128 v[5:8], v20, s[8:9]
	global_load_b128 v[12:15], v20, s[8:9] offset:16
	v_lshlrev_b32_e32 v55, 2, v55
	v_lshlrev_b32_e32 v35, 3, v21
	s_clause 0x3
	global_load_b64 v[33:34], v20, s[8:9] offset:32
	global_load_b128 v[20:23], v35, s[8:9]
	global_load_b128 v[24:27], v35, s[8:9] offset:16
	global_load_b64 v[35:36], v35, s[8:9] offset:32
	v_and_b32_e32 v46, 0xffff, v31
	ds_load_b32 v64, v18
	ds_load_2addr_stride64_b32 v[43:44], v11 offset0:12 offset1:15
	v_add3_u32 v55, 0, v62, v55
	v_mul_u32_u24_e32 v58, 0xe38f, v46
	v_mul_lo_u16 v46, v59, 36
	s_delay_alu instid0(VALU_DEP_2) | instskip(NEXT) | instid1(VALU_DEP_2)
	v_lshrrev_b32_e32 v60, 21, v58
	v_sub_nc_u16 v45, v32, v46
	s_delay_alu instid0(VALU_DEP_2) | instskip(NEXT) | instid1(VALU_DEP_2)
	v_mul_lo_u16 v47, v60, 36
	v_and_b32_e32 v65, 0xffff, v45
	s_delay_alu instid0(VALU_DEP_2) | instskip(NEXT) | instid1(VALU_DEP_1)
	v_sub_nc_u16 v46, v31, v47
	v_and_b32_e32 v66, 0xffff, v46
	ds_load_2addr_stride64_b32 v[45:46], v11 offset0:18 offset1:21
	ds_load_2addr_stride64_b32 v[47:48], v11 offset1:9
	ds_load_2addr_stride64_b32 v[49:50], v11 offset0:24 offset1:27
	ds_load_2addr_stride64_b32 v[51:52], v11 offset0:30 offset1:33
	ds_load_b32 v68, v19
	global_wb scope:SCOPE_SE
	s_wait_loadcnt_dscnt 0x0
	s_barrier_signal -1
	s_barrier_wait -1
	global_inv scope:SCOPE_SE
	v_dual_mul_f32 v62, v64, v6 :: v_dual_mul_f32 v71, v49, v15
	v_dual_mul_f32 v15, v39, v15 :: v_dual_lshlrev_b32 v56, 2, v56
	v_mul_f32_e32 v6, v53, v6
	v_mul_f32_e32 v70, v45, v13
	v_dual_mul_f32 v13, v37, v13 :: v_dual_mul_f32 v72, v51, v34
	v_dual_mul_f32 v75, v46, v25 :: v_dual_mul_f32 v34, v41, v34
	;; [unrolled: 1-line block ×3, first 2 shown]
	s_delay_alu instid0(VALU_DEP_3)
	v_fmac_f32_e32 v13, v45, v12
	v_mul_f32_e32 v23, v29, v23
	v_add3_u32 v56, 0, v61, v56
	v_lshlrev_b32_e32 v61, 3, v67
	v_mul_f32_e32 v67, v43, v8
	v_mul_f32_e32 v8, v28, v8
	;; [unrolled: 1-line block ×4, first 2 shown]
	v_dual_mul_f32 v76, v50, v27 :: v_dual_mul_f32 v77, v52, v36
	v_dual_mul_f32 v27, v40, v27 :: v_dual_mul_f32 v36, v42, v36
	v_fmac_f32_e32 v15, v49, v14
	v_fma_f32 v53, v53, v5, -v62
	v_dual_fmac_f32 v6, v64, v5 :: v_dual_fmac_f32 v25, v46, v24
	v_fma_f32 v5, v28, v7, -v67
	v_dual_fmac_f32 v8, v43, v7 :: v_dual_fmac_f32 v21, v48, v20
	v_fma_f32 v7, v37, v12, -v70
	v_fma_f32 v12, v39, v14, -v71
	;; [unrolled: 1-line block ×3, first 2 shown]
	v_dual_fmac_f32 v34, v51, v33 :: v_dual_fmac_f32 v23, v44, v22
	v_fma_f32 v10, v10, v20, -v73
	v_fma_f32 v20, v29, v22, -v74
	;; [unrolled: 1-line block ×4, first 2 shown]
	v_dual_fmac_f32 v27, v50, v26 :: v_dual_fmac_f32 v36, v52, v35
	v_fma_f32 v26, v42, v35, -v77
	v_dual_add_f32 v28, v9, v5 :: v_dual_sub_f32 v33, v8, v15
	v_add_f32_e32 v29, v5, v12
	v_dual_add_f32 v35, v47, v8 :: v_dual_add_f32 v40, v6, v13
	v_dual_add_f32 v8, v8, v15 :: v_dual_sub_f32 v5, v5, v12
	v_add_f32_e32 v38, v7, v14
	v_dual_sub_f32 v39, v13, v34 :: v_dual_add_f32 v44, v68, v23
	v_add_f32_e32 v13, v13, v34
	v_dual_add_f32 v37, v53, v7 :: v_dual_add_f32 v42, v20, v24
	v_dual_sub_f32 v7, v7, v14 :: v_dual_sub_f32 v48, v25, v36
	v_add_f32_e32 v41, v54, v20
	v_dual_sub_f32 v43, v23, v27 :: v_dual_add_f32 v46, v22, v26
	v_dual_add_f32 v23, v23, v27 :: v_dual_sub_f32 v20, v20, v24
	v_dual_add_f32 v45, v10, v22 :: v_dual_add_f32 v12, v28, v12
	v_add_f32_e32 v49, v21, v25
	v_dual_add_f32 v25, v25, v36 :: v_dual_fmac_f32 v6, -0.5, v13
	v_dual_sub_f32 v22, v22, v26 :: v_dual_fmac_f32 v47, -0.5, v8
	v_dual_fmac_f32 v53, -0.5, v38 :: v_dual_fmac_f32 v68, -0.5, v23
	v_dual_fmac_f32 v9, -0.5, v29 :: v_dual_fmac_f32 v54, -0.5, v42
	v_dual_add_f32 v15, v35, v15 :: v_dual_fmac_f32 v10, -0.5, v46
	v_add_f32_e32 v8, v37, v14
	v_add_f32_e32 v14, v40, v34
	;; [unrolled: 1-line block ×3, first 2 shown]
	v_dual_add_f32 v26, v49, v36 :: v_dual_fmac_f32 v21, -0.5, v25
	v_dual_add_f32 v13, v41, v24 :: v_dual_fmamk_f32 v28, v7, 0xbf5db3d7, v6
	v_dual_add_f32 v24, v44, v27 :: v_dual_fmamk_f32 v27, v5, 0xbf5db3d7, v47
	v_fmac_f32_e32 v47, 0x3f5db3d7, v5
	v_fmamk_f32 v5, v39, 0x3f5db3d7, v53
	v_fmac_f32_e32 v53, 0xbf5db3d7, v39
	v_dual_fmac_f32 v6, 0x3f5db3d7, v7 :: v_dual_fmamk_f32 v25, v33, 0x3f5db3d7, v9
	v_fmac_f32_e32 v9, 0xbf5db3d7, v33
	v_add_f32_e32 v7, v12, v8
	v_dual_add_f32 v37, v15, v14 :: v_dual_sub_f32 v8, v12, v8
	v_dual_sub_f32 v12, v15, v14 :: v_dual_fmamk_f32 v15, v20, 0xbf5db3d7, v68
	v_fmac_f32_e32 v68, 0x3f5db3d7, v20
	v_fmamk_f32 v20, v48, 0x3f5db3d7, v10
	v_dual_fmamk_f32 v29, v22, 0xbf5db3d7, v21 :: v_dual_add_f32 v38, v24, v26
	v_fmac_f32_e32 v10, 0xbf5db3d7, v48
	v_dual_fmac_f32 v21, 0x3f5db3d7, v22 :: v_dual_add_f32 v22, v13, v23
	v_dual_sub_f32 v13, v13, v23 :: v_dual_mul_f32 v34, -0.5, v6
	v_dual_sub_f32 v23, v24, v26 :: v_dual_mul_f32 v24, 0x3f5db3d7, v28
	s_delay_alu instid0(VALU_DEP_3) | instskip(SKIP_4) | instid1(VALU_DEP_4)
	v_mul_f32_e32 v40, -0.5, v21
	v_dual_mul_f32 v33, 0xbf5db3d7, v5 :: v_dual_mul_f32 v36, -0.5, v10
	v_mul_f32_e32 v26, -0.5, v53
	v_mul_f32_e32 v35, 0x3f5db3d7, v29
	v_dual_mul_f32 v39, 0xbf5db3d7, v20 :: v_dual_fmac_f32 v24, 0.5, v5
	v_dual_fmac_f32 v33, 0.5, v28 :: v_dual_fmac_f32 v34, 0xbf5db3d7, v53
	s_delay_alu instid0(VALU_DEP_4) | instskip(NEXT) | instid1(VALU_DEP_4)
	v_fmac_f32_e32 v26, 0x3f5db3d7, v6
	v_dual_fmamk_f32 v14, v43, 0x3f5db3d7, v54 :: v_dual_fmac_f32 v35, 0.5, v20
	v_fmac_f32_e32 v36, 0x3f5db3d7, v21
	v_dual_fmac_f32 v39, 0.5, v29 :: v_dual_fmac_f32 v40, 0xbf5db3d7, v10
	v_dual_fmac_f32 v54, 0xbf5db3d7, v43 :: v_dual_add_f32 v5, v25, v24
	v_add_f32_e32 v10, v27, v33
	v_dual_add_f32 v6, v9, v26 :: v_dual_sub_f32 v41, v27, v33
	v_dual_add_f32 v20, v47, v34 :: v_dual_sub_f32 v21, v25, v24
	v_mul_u32_u24_e32 v69, 3, v65
	v_dual_sub_f32 v9, v9, v26 :: v_dual_add_f32 v24, v14, v35
	v_dual_sub_f32 v42, v47, v34 :: v_dual_add_f32 v25, v54, v36
	v_dual_add_f32 v43, v15, v39 :: v_dual_add_f32 v44, v68, v40
	v_dual_sub_f32 v26, v54, v36 :: v_dual_sub_f32 v15, v15, v39
	v_dual_sub_f32 v14, v14, v35 :: v_dual_sub_f32 v39, v68, v40
	ds_store_2addr_b32 v55, v7, v5 offset1:6
	ds_store_2addr_b32 v55, v6, v8 offset0:12 offset1:18
	ds_store_2addr_b32 v55, v21, v9 offset0:24 offset1:30
	ds_store_2addr_b32 v56, v22, v24 offset1:6
	ds_store_2addr_b32 v56, v25, v13 offset0:12 offset1:18
	ds_store_2addr_b32 v56, v14, v26 offset0:24 offset1:30
	global_wb scope:SCOPE_SE
	s_wait_dscnt 0x0
	s_barrier_signal -1
	s_barrier_wait -1
	global_inv scope:SCOPE_SE
	ds_load_2addr_stride64_b32 v[24:25], v11 offset1:9
	ds_load_2addr_stride64_b32 v[26:27], v11 offset0:18 offset1:21
	ds_load_2addr_stride64_b32 v[28:29], v11 offset0:24 offset1:27
	;; [unrolled: 1-line block ×4, first 2 shown]
	ds_load_b32 v62, v19
	ds_load_b32 v64, v18
	global_wb scope:SCOPE_SE
	s_wait_dscnt 0x0
	s_barrier_signal -1
	s_barrier_wait -1
	global_inv scope:SCOPE_SE
	ds_store_2addr_b32 v55, v37, v10 offset1:6
	ds_store_2addr_b32 v55, v20, v12 offset0:12 offset1:18
	ds_store_2addr_b32 v55, v41, v42 offset0:24 offset1:30
	ds_store_2addr_b32 v56, v38, v43 offset1:6
	ds_store_2addr_b32 v56, v44, v23 offset0:12 offset1:18
	ds_store_2addr_b32 v56, v15, v39 offset0:24 offset1:30
	global_wb scope:SCOPE_SE
	s_wait_dscnt 0x0
	s_barrier_signal -1
	s_barrier_wait -1
	global_inv scope:SCOPE_SE
	global_load_b128 v[7:10], v61, s[8:9] offset:240
	v_lshlrev_b32_e32 v5, 3, v69
	s_clause 0x1
	global_load_b64 v[37:38], v61, s[8:9] offset:256
	global_load_b128 v[12:15], v5, s[8:9] offset:240
	v_mul_u32_u24_e32 v6, 3, v66
	v_lshrrev_b32_e32 v56, 23, v57
	v_lshrrev_b32_e32 v57, 23, v58
	v_mul_u32_u24_e32 v58, 0x240, v59
	s_delay_alu instid0(VALU_DEP_4)
	v_lshlrev_b32_e32 v6, 3, v6
	s_clause 0x2
	global_load_b64 v[39:40], v5, s[8:9] offset:256
	global_load_b128 v[20:23], v6, s[8:9] offset:240
	global_load_b64 v[41:42], v6, s[8:9] offset:256
	v_add_nc_u32_e32 v5, 0xffffff70, v30
	v_mul_lo_u16 v45, 0x90, v56
	v_mul_lo_u16 v46, 0x90, v57
	v_mov_b32_e32 v6, 0
	ds_load_2addr_stride64_b32 v[51:52], v11 offset0:12 offset1:15
	s_wait_alu 0xf1ff
	v_cndmask_b32_e64 v55, v5, v30, s0
	v_sub_nc_u16 v47, v32, v45
	v_sub_nc_u16 v49, v31, v46
	ds_load_2addr_stride64_b32 v[45:46], v11 offset1:9
	ds_load_2addr_stride64_b32 v[53:54], v11 offset0:30 offset1:33
	v_mul_i32_i24_e32 v5, 3, v55
	v_and_b32_e32 v59, 0xffff, v47
	ds_load_2addr_stride64_b32 v[47:48], v11 offset0:18 offset1:21
	v_and_b32_e32 v16, 0xffff, v16
	v_lshlrev_b64_e32 v[43:44], 3, v[5:6]
	v_mul_u32_u24_e32 v5, 0x240, v60
	v_and_b32_e32 v60, 0xffff, v49
	ds_load_2addr_stride64_b32 v[49:50], v11 offset0:24 offset1:27
	v_lshlrev_b32_e32 v61, 2, v63
	v_lshlrev_b32_e32 v63, 2, v65
	;; [unrolled: 1-line block ×3, first 2 shown]
	v_add_co_u32 v43, s0, s8, v43
	s_wait_alu 0xf1ff
	v_add_co_ci_u32_e64 v44, s0, s9, v44, s0
	v_cmp_lt_u32_e64 s0, 0x8f, v30
	s_wait_loadcnt_dscnt 0x501
	v_mul_f32_e32 v67, v47, v10
	v_mul_u32_u24_e32 v16, 0x240, v16
	v_mul_f32_e32 v10, v26, v10
	v_mul_u32_u24_e32 v66, 3, v59
	s_wait_loadcnt_dscnt 0x400
	v_mul_f32_e32 v68, v50, v38
	s_wait_loadcnt 0x3
	v_mul_f32_e32 v70, v48, v15
	v_add3_u32 v16, 0, v16, v61
	v_mul_f32_e32 v38, v29, v38
	v_add3_u32 v58, 0, v58, v63
	ds_load_b32 v61, v19
	ds_load_b32 v63, v18
	v_add3_u32 v5, 0, v5, v65
	v_mul_f32_e32 v65, v46, v8
	v_dual_mul_f32 v8, v25, v8 :: v_dual_mul_f32 v69, v51, v13
	v_mul_f32_e32 v13, v33, v13
	v_mul_f32_e32 v15, v27, v15
	s_wait_loadcnt 0x1
	v_dual_mul_f32 v71, v53, v40 :: v_dual_mul_f32 v72, v52, v21
	v_dual_mul_f32 v40, v35, v40 :: v_dual_mul_f32 v21, v34, v21
	v_dual_mul_f32 v73, v49, v23 :: v_dual_fmac_f32 v10, v47, v9
	v_dual_mul_f32 v23, v28, v23 :: v_dual_fmac_f32 v38, v50, v37
	s_wait_loadcnt 0x0
	v_mul_f32_e32 v74, v54, v42
	v_mul_f32_e32 v42, v36, v42
	v_fma_f32 v25, v25, v7, -v65
	v_dual_fmac_f32 v8, v46, v7 :: v_dual_fmac_f32 v13, v51, v12
	v_fma_f32 v7, v26, v9, -v67
	v_fma_f32 v9, v29, v37, -v68
	;; [unrolled: 1-line block ×4, first 2 shown]
	v_dual_fmac_f32 v15, v48, v14 :: v_dual_fmac_f32 v40, v53, v39
	v_fma_f32 v14, v35, v39, -v71
	v_fma_f32 v27, v34, v20, -v72
	v_dual_fmac_f32 v21, v52, v20 :: v_dual_fmac_f32 v42, v54, v41
	v_fma_f32 v20, v28, v22, -v73
	v_dual_fmac_f32 v23, v49, v22 :: v_dual_sub_f32 v12, v62, v12
	v_fma_f32 v22, v36, v41, -v74
	v_dual_sub_f32 v7, v24, v7 :: v_dual_sub_f32 v10, v45, v10
	v_dual_sub_f32 v9, v25, v9 :: v_dual_sub_f32 v28, v8, v38
	s_wait_dscnt 0x1
	v_dual_sub_f32 v15, v61, v15 :: v_dual_sub_f32 v14, v26, v14
	v_dual_sub_f32 v29, v13, v40 :: v_dual_sub_f32 v22, v27, v22
	s_wait_dscnt 0x0
	v_dual_sub_f32 v20, v64, v20 :: v_dual_sub_f32 v23, v63, v23
	v_sub_f32_e32 v33, v21, v42
	v_fma_f32 v34, v45, 2.0, -v10
	v_fma_f32 v8, v8, 2.0, -v28
	v_sub_f32_e32 v28, v7, v28
	v_fma_f32 v24, v24, 2.0, -v7
	v_fma_f32 v25, v25, 2.0, -v9
	;; [unrolled: 1-line block ×10, first 2 shown]
	v_dual_add_f32 v9, v10, v9 :: v_dual_add_f32 v14, v15, v14
	v_dual_sub_f32 v33, v20, v33 :: v_dual_sub_f32 v8, v34, v8
	v_dual_sub_f32 v25, v24, v25 :: v_dual_sub_f32 v26, v35, v26
	v_dual_sub_f32 v29, v12, v29 :: v_dual_add_f32 v22, v23, v22
	v_sub_f32_e32 v13, v36, v13
	v_sub_f32_e32 v27, v37, v27
	;; [unrolled: 1-line block ×3, first 2 shown]
	v_fma_f32 v10, v10, 2.0, -v9
	v_fma_f32 v39, v34, 2.0, -v8
	;; [unrolled: 1-line block ×10, first 2 shown]
	v_mul_u32_u24_e32 v51, 0x900, v56
	v_lshlrev_b32_e32 v56, 2, v60
	v_fma_f32 v35, v37, 2.0, -v27
	v_fma_f32 v37, v38, 2.0, -v21
	global_wb scope:SCOPE_SE
	s_barrier_signal -1
	s_barrier_wait -1
	global_inv scope:SCOPE_SE
	ds_store_2addr_b32 v16, v25, v28 offset0:72 offset1:108
	ds_store_2addr_b32 v16, v24, v7 offset1:36
	ds_store_2addr_b32 v58, v34, v12 offset1:36
	ds_store_2addr_b32 v58, v26, v29 offset0:72 offset1:108
	ds_store_2addr_b32 v5, v35, v20 offset1:36
	ds_store_2addr_b32 v5, v27, v33 offset0:72 offset1:108
	global_wb scope:SCOPE_SE
	s_wait_dscnt 0x0
	s_barrier_signal -1
	s_barrier_wait -1
	global_inv scope:SCOPE_SE
	ds_load_2addr_stride64_b32 v[24:25], v11 offset1:9
	ds_load_2addr_stride64_b32 v[26:27], v11 offset0:18 offset1:21
	ds_load_2addr_stride64_b32 v[28:29], v11 offset0:24 offset1:27
	;; [unrolled: 1-line block ×4, first 2 shown]
	ds_load_b32 v53, v19
	ds_load_b32 v54, v18
	global_wb scope:SCOPE_SE
	s_wait_dscnt 0x0
	s_barrier_signal -1
	s_barrier_wait -1
	global_inv scope:SCOPE_SE
	ds_store_2addr_b32 v16, v39, v10 offset1:36
	ds_store_2addr_b32 v16, v8, v9 offset0:72 offset1:108
	ds_store_2addr_b32 v58, v40, v15 offset1:36
	ds_store_2addr_b32 v58, v13, v14 offset0:72 offset1:108
	;; [unrolled: 2-line block ×3, first 2 shown]
	global_wb scope:SCOPE_SE
	s_wait_dscnt 0x0
	s_barrier_signal -1
	s_barrier_wait -1
	global_inv scope:SCOPE_SE
	global_load_b128 v[7:10], v[43:44], off offset:1104
	v_mul_u32_u24_e32 v16, 3, v60
	v_lshlrev_b32_e32 v5, 3, v66
	s_clause 0x1
	global_load_b64 v[37:38], v[43:44], off offset:1120
	global_load_b128 v[12:15], v5, s[8:9] offset:1104
	v_lshlrev_b32_e32 v16, 3, v16
	s_clause 0x2
	global_load_b64 v[39:40], v5, s[8:9] offset:1120
	global_load_b128 v[20:23], v16, s[8:9] offset:1104
	global_load_b64 v[41:42], v16, s[8:9] offset:1120
	ds_load_2addr_stride64_b32 v[45:46], v11 offset0:18 offset1:21
	v_lshlrev_b32_e32 v16, 2, v55
	v_mul_u32_u24_e32 v52, 0x900, v57
	v_lshlrev_b32_e32 v55, 2, v59
	ds_load_2addr_stride64_b32 v[43:44], v11 offset1:9
	ds_load_2addr_stride64_b32 v[47:48], v11 offset0:24 offset1:27
	ds_load_2addr_stride64_b32 v[49:50], v11 offset0:12 offset1:15
	v_add3_u32 v56, 0, v52, v56
	s_wait_alu 0xf1ff
	v_cndmask_b32_e64 v5, 0, 0x900, s0
	s_delay_alu instid0(VALU_DEP_2) | instskip(NEXT) | instid1(VALU_DEP_2)
	v_add_nc_u32_e32 v59, 0x400, v56
	v_add3_u32 v5, 0, v5, v16
	s_wait_loadcnt_dscnt 0x503
	s_delay_alu instid0(VALU_DEP_1)
	v_dual_mul_f32 v62, v45, v10 :: v_dual_add_nc_u32 v57, 0x400, v5
	v_mul_f32_e32 v10, v26, v10
	v_add3_u32 v55, 0, v51, v55
	ds_load_2addr_stride64_b32 v[51:52], v11 offset0:30 offset1:33
	ds_load_b32 v16, v19
	ds_load_b32 v60, v18
	s_wait_dscnt 0x5
	v_mul_f32_e32 v61, v44, v8
	v_mul_f32_e32 v8, v25, v8
	s_wait_loadcnt_dscnt 0x404
	v_dual_mul_f32 v63, v48, v38 :: v_dual_add_nc_u32 v58, 0x400, v55
	s_wait_loadcnt_dscnt 0x303
	v_mul_f32_e32 v64, v49, v13
	v_mul_f32_e32 v38, v29, v38
	;; [unrolled: 1-line block ×5, first 2 shown]
	s_wait_loadcnt 0x1
	v_dual_mul_f32 v67, v50, v21 :: v_dual_mul_f32 v68, v47, v23
	v_dual_mul_f32 v21, v34, v21 :: v_dual_fmac_f32 v8, v44, v7
	v_dual_mul_f32 v23, v28, v23 :: v_dual_fmac_f32 v10, v45, v9
	v_fma_f32 v25, v25, v7, -v61
	v_fma_f32 v7, v26, v9, -v62
	;; [unrolled: 1-line block ×3, first 2 shown]
	s_wait_dscnt 0x2
	v_mul_f32_e32 v66, v51, v40
	s_wait_loadcnt 0x0
	v_dual_mul_f32 v40, v35, v40 :: v_dual_mul_f32 v69, v52, v42
	v_mul_f32_e32 v42, v36, v42
	v_dual_fmac_f32 v38, v48, v37 :: v_dual_fmac_f32 v13, v49, v12
	v_fma_f32 v26, v33, v12, -v64
	v_fma_f32 v12, v27, v14, -v65
	s_delay_alu instid0(VALU_DEP_4)
	v_dual_fmac_f32 v15, v46, v14 :: v_dual_fmac_f32 v42, v52, v41
	v_fma_f32 v14, v35, v39, -v66
	v_fmac_f32_e32 v40, v51, v39
	v_fma_f32 v27, v34, v20, -v67
	v_fmac_f32_e32 v21, v50, v20
	v_fma_f32 v20, v28, v22, -v68
	v_sub_f32_e32 v28, v43, v10
	v_dual_fmac_f32 v23, v47, v22 :: v_dual_sub_f32 v12, v53, v12
	v_fma_f32 v22, v36, v41, -v69
	v_dual_sub_f32 v7, v24, v7 :: v_dual_sub_f32 v14, v26, v14
	v_dual_sub_f32 v9, v25, v9 :: v_dual_sub_f32 v10, v8, v38
	s_wait_dscnt 0x1
	v_dual_sub_f32 v29, v16, v15 :: v_dual_sub_f32 v20, v54, v20
	v_dual_sub_f32 v15, v13, v40 :: v_dual_sub_f32 v22, v27, v22
	v_fma_f32 v24, v24, 2.0, -v7
	v_fma_f32 v34, v43, 2.0, -v28
	v_fma_f32 v25, v25, 2.0, -v9
	v_fma_f32 v8, v8, 2.0, -v10
	v_sub_f32_e32 v33, v21, v42
	v_add_f32_e32 v35, v28, v9
	v_fma_f32 v9, v53, 2.0, -v12
	v_fma_f32 v36, v16, 2.0, -v29
	v_fma_f32 v16, v26, 2.0, -v14
	v_add_f32_e32 v26, v29, v14
	v_fma_f32 v13, v13, 2.0, -v15
	v_fma_f32 v14, v54, 2.0, -v20
	;; [unrolled: 1-line block ×3, first 2 shown]
	s_wait_dscnt 0x0
	v_dual_sub_f32 v23, v60, v23 :: v_dual_sub_f32 v10, v7, v10
	v_dual_sub_f32 v25, v24, v25 :: v_dual_sub_f32 v38, v34, v8
	v_fma_f32 v21, v21, 2.0, -v33
	v_dual_sub_f32 v33, v20, v33 :: v_dual_sub_f32 v8, v9, v16
	s_delay_alu instid0(VALU_DEP_4)
	v_dual_sub_f32 v15, v12, v15 :: v_dual_add_f32 v22, v23, v22
	v_sub_f32_e32 v39, v36, v13
	v_sub_f32_e32 v13, v14, v27
	v_fma_f32 v7, v7, 2.0, -v10
	v_fma_f32 v16, v20, 2.0, -v33
	;; [unrolled: 1-line block ×6, first 2 shown]
	global_wb scope:SCOPE_SE
	s_barrier_signal -1
	s_barrier_wait -1
	global_inv scope:SCOPE_SE
	ds_store_2addr_b32 v57, v25, v10 offset0:32 offset1:176
	ds_store_2addr_b32 v5, v20, v7 offset1:144
	ds_store_2addr_b32 v55, v9, v12 offset1:144
	ds_store_2addr_b32 v58, v8, v15 offset0:32 offset1:176
	ds_store_2addr_b32 v56, v14, v16 offset1:144
	ds_store_2addr_b32 v59, v13, v33 offset0:32 offset1:176
	global_wb scope:SCOPE_SE
	s_wait_dscnt 0x0
	s_barrier_signal -1
	s_barrier_wait -1
	global_inv scope:SCOPE_SE
	ds_load_2addr_stride64_b32 v[13:14], v11 offset1:9
	ds_load_2addr_stride64_b32 v[7:8], v11 offset0:18 offset1:21
	ds_load_2addr_stride64_b32 v[15:16], v11 offset0:24 offset1:27
	;; [unrolled: 1-line block ×4, first 2 shown]
	ds_load_b32 v19, v19
	ds_load_b32 v20, v18
	v_fma_f32 v37, v60, 2.0, -v23
	v_fma_f32 v24, v34, 2.0, -v38
	;; [unrolled: 1-line block ×5, first 2 shown]
	v_sub_f32_e32 v21, v37, v21
	v_fma_f32 v23, v23, 2.0, -v22
	global_wb scope:SCOPE_SE
	s_wait_dscnt 0x0
	s_barrier_signal -1
	s_barrier_wait -1
	v_fma_f32 v29, v37, 2.0, -v21
	global_inv scope:SCOPE_SE
	ds_store_2addr_b32 v5, v24, v25 offset1:144
	ds_store_2addr_b32 v57, v38, v35 offset0:32 offset1:176
	ds_store_2addr_b32 v55, v27, v28 offset1:144
	ds_store_2addr_b32 v58, v39, v26 offset0:32 offset1:176
	;; [unrolled: 2-line block ×3, first 2 shown]
	global_wb scope:SCOPE_SE
	s_wait_dscnt 0x0
	s_barrier_signal -1
	s_barrier_wait -1
	global_inv scope:SCOPE_SE
	s_and_saveexec_b32 s0, vcc_lo
	s_cbranch_execz .LBB0_15
; %bb.14:
	v_mul_i32_i24_e32 v5, 3, v31
	v_mul_u32_u24_e32 v21, 3, v30
	v_mul_i32_i24_e32 v31, 0xffffffec, v32
	v_mul_lo_u32 v41, s2, v4
	v_mul_i32_i24_e32 v29, 0xffffffec, v30
	v_lshlrev_b64_e32 v[25:26], 3, v[5:6]
	v_mul_i32_i24_e32 v5, 3, v32
	v_lshlrev_b32_e32 v27, 3, v21
	v_mul_lo_u32 v32, s3, v3
	v_mad_co_u64_u32 v[3:4], null, s2, v3, 0
	s_delay_alu instid0(VALU_DEP_4)
	v_lshlrev_b64_e32 v[5:6], 3, v[5:6]
	v_add_co_u32 v33, vcc_lo, s8, v25
	s_wait_alu 0xfffd
	v_add_co_ci_u32_e32 v34, vcc_lo, s9, v26, vcc_lo
	s_clause 0x1
	global_load_b128 v[21:24], v27, s[8:9] offset:4560
	global_load_b64 v[37:38], v27, s[8:9] offset:4576
	v_add_co_u32 v5, vcc_lo, s8, v5
	s_wait_alu 0xfffd
	v_add_co_ci_u32_e32 v6, vcc_lo, s9, v6, vcc_lo
	s_clause 0x1
	global_load_b128 v[25:28], v[33:34], off offset:4560
	global_load_b64 v[39:40], v[33:34], off offset:4576
	v_add_nc_u32_e32 v48, 0x180, v30
	s_clause 0x1
	global_load_b128 v[33:36], v[5:6], off offset:4560
	global_load_b64 v[5:6], v[5:6], off offset:4576
	ds_load_b32 v74, v18
	v_mul_hi_u32 v18, 0x38e38e39, v30
	v_add_nc_u32_e32 v0, v0, v29
	v_mul_hi_u32 v46, 0x38e38e39, v48
	v_add3_u32 v4, v4, v41, v32
	v_add_nc_u32_e32 v29, v17, v31
	v_add_nc_u32_e32 v47, 0xc0, v30
	v_lshlrev_b64_e32 v[1:2], 3, v[1:2]
	v_lshrrev_b32_e32 v49, 7, v18
	ds_load_2addr_stride64_b32 v[17:18], v0 offset0:24 offset1:27
	ds_load_2addr_stride64_b32 v[31:32], v0 offset0:12 offset1:15
	;; [unrolled: 1-line block ×3, first 2 shown]
	ds_load_b32 v75, v29
	ds_load_2addr_stride64_b32 v[43:44], v0 offset0:18 offset1:21
	v_lshlrev_b64_e32 v[3:4], 3, v[3:4]
	v_lshrrev_b32_e32 v50, 7, v46
	v_mul_u32_u24_e32 v29, 0x240, v49
	s_delay_alu instid0(VALU_DEP_1) | instskip(NEXT) | instid1(VALU_DEP_3)
	v_sub_nc_u32_e32 v53, v30, v29
	v_mul_u32_u24_e32 v29, 0x240, v50
	v_add_co_u32 v30, vcc_lo, s6, v3
	s_wait_alu 0xfffd
	v_add_co_ci_u32_e32 v51, vcc_lo, s7, v4, vcc_lo
	v_mad_co_u64_u32 v[3:4], null, s16, v53, 0
	v_add_nc_u32_e32 v68, 0x480, v53
	v_sub_nc_u32_e32 v52, v48, v29
	v_add_co_u32 v76, vcc_lo, v30, v1
	s_wait_alu 0xfffd
	v_add_co_ci_u32_e32 v77, vcc_lo, v51, v2, vcc_lo
	v_mad_co_u64_u32 v[29:30], null, s16, v68, 0
	v_mad_u32_u24 v71, 0x900, v50, v52
	v_mov_b32_e32 v2, v4
	v_add_nc_u32_e32 v66, 0x240, v53
	s_delay_alu instid0(VALU_DEP_3) | instskip(SKIP_1) | instid1(VALU_DEP_4)
	v_mad_co_u64_u32 v[51:52], null, s16, v71, 0
	v_add_nc_u32_e32 v69, 0x6c0, v53
	v_mad_co_u64_u32 v[53:54], null, s17, v53, v[2:3]
	v_mov_b32_e32 v2, v30
	v_mul_hi_u32 v45, 0x38e38e39, v47
	v_add_nc_u32_e32 v80, 0x480, v71
	s_delay_alu instid0(VALU_DEP_1) | instskip(NEXT) | instid1(VALU_DEP_3)
	v_mad_co_u64_u32 v[62:63], null, s16, v80, 0
	v_lshrrev_b32_e32 v49, 7, v45
	ds_load_2addr_stride64_b32 v[45:46], v0 offset1:9
	v_mul_u32_u24_e32 v0, 0x240, v49
	s_delay_alu instid0(VALU_DEP_1) | instskip(SKIP_1) | instid1(VALU_DEP_2)
	v_sub_nc_u32_e32 v47, v47, v0
	v_mad_co_u64_u32 v[0:1], null, s16, v66, 0
	v_mad_u32_u24 v70, 0x900, v49, v47
	s_delay_alu instid0(VALU_DEP_2)
	v_mad_co_u64_u32 v[66:67], null, s17, v66, v[1:2]
	v_mad_co_u64_u32 v[67:68], null, s17, v68, v[2:3]
	v_mov_b32_e32 v2, v52
	v_mad_co_u64_u32 v[47:48], null, s16, v69, 0
	v_mad_co_u64_u32 v[49:50], null, s16, v70, 0
	v_add_nc_u32_e32 v73, 0x480, v70
	v_add_nc_u32_e32 v72, 0x240, v70
	v_mov_b32_e32 v30, v67
	s_delay_alu instid0(VALU_DEP_4) | instskip(SKIP_1) | instid1(VALU_DEP_1)
	v_dual_mov_b32 v4, v48 :: v_dual_mov_b32 v1, v50
	s_wait_loadcnt 0x0
	v_mad_co_u64_u32 v[68:69], null, s17, v69, v[4:5]
	v_mov_b32_e32 v4, v53
	v_mad_co_u64_u32 v[56:57], null, s16, v73, 0
	v_mad_co_u64_u32 v[52:53], null, s17, v70, v[1:2]
	s_delay_alu instid0(VALU_DEP_4) | instskip(NEXT) | instid1(VALU_DEP_3)
	v_dual_mov_b32 v1, v66 :: v_dual_mov_b32 v48, v68
	v_mov_b32_e32 v53, v57
	v_mov_b32_e32 v57, v63
	v_mad_co_u64_u32 v[54:55], null, s16, v72, 0
	v_add_nc_u32_e32 v79, 0x240, v71
	v_lshlrev_b64_e32 v[0:1], 3, v[0:1]
	s_delay_alu instid0(VALU_DEP_3) | instskip(NEXT) | instid1(VALU_DEP_3)
	v_mov_b32_e32 v50, v55
	v_mad_co_u64_u32 v[60:61], null, s16, v79, 0
	v_add_nc_u32_e32 v81, 0x6c0, v71
	s_delay_alu instid0(VALU_DEP_1) | instskip(SKIP_4) | instid1(VALU_DEP_4)
	v_mad_co_u64_u32 v[64:65], null, s16, v81, 0
	v_add_nc_u32_e32 v78, 0x6c0, v70
	v_mad_co_u64_u32 v[69:70], null, s17, v71, v[2:3]
	v_lshlrev_b64_e32 v[3:4], 3, v[3:4]
	v_mov_b32_e32 v2, v61
	v_mad_co_u64_u32 v[58:59], null, s16, v78, 0
	s_delay_alu instid0(VALU_DEP_2) | instskip(SKIP_1) | instid1(VALU_DEP_3)
	v_mad_co_u64_u32 v[70:71], null, s17, v79, v[2:3]
	v_add_co_u32 v2, vcc_lo, v76, v3
	v_mov_b32_e32 v55, v59
	v_mov_b32_e32 v59, v65
	v_mad_co_u64_u32 v[65:66], null, s17, v72, v[50:51]
	v_mad_co_u64_u32 v[66:67], null, s17, v73, v[53:54]
	s_delay_alu instid0(VALU_DEP_4) | instskip(SKIP_1) | instid1(VALU_DEP_4)
	v_mad_co_u64_u32 v[67:68], null, s17, v78, v[55:56]
	v_dual_mov_b32 v50, v52 :: v_dual_mov_b32 v61, v70
	v_mov_b32_e32 v55, v65
	v_mad_co_u64_u32 v[71:72], null, s17, v80, v[57:58]
	v_mad_co_u64_u32 v[72:73], null, s17, v81, v[59:60]
	v_dual_mov_b32 v52, v69 :: v_dual_mov_b32 v57, v66
	v_mov_b32_e32 v59, v67
	s_wait_alu 0xfffd
	v_add_co_ci_u32_e32 v3, vcc_lo, v77, v4, vcc_lo
	v_mov_b32_e32 v63, v71
	v_dual_mov_b32 v65, v72 :: v_dual_mul_f32 v4, v7, v24
	v_lshlrev_b64_e32 v[53:54], 3, v[54:55]
	v_lshlrev_b64_e32 v[55:56], 3, v[56:57]
	;; [unrolled: 1-line block ×6, first 2 shown]
	s_wait_dscnt 0x0
	v_dual_mul_f32 v65, v46, v22 :: v_dual_mul_f32 v24, v43, v24
	v_mul_f32_e32 v22, v14, v22
	v_fmac_f32_e32 v4, v43, v23
	v_lshlrev_b64_e32 v[29:30], 3, v[29:30]
	s_delay_alu instid0(VALU_DEP_4)
	v_fma_f32 v14, v14, v21, -v65
	v_fma_f32 v7, v7, v23, -v24
	v_mul_f32_e32 v66, v18, v38
	v_dual_mul_f32 v38, v16, v38 :: v_dual_mul_f32 v23, v42, v40
	v_mul_f32_e32 v24, v17, v28
	v_lshlrev_b64_e32 v[47:48], 3, v[47:48]
	s_delay_alu instid0(VALU_DEP_4) | instskip(NEXT) | instid1(VALU_DEP_4)
	v_fma_f32 v16, v16, v37, -v66
	v_fmac_f32_e32 v38, v37, v18
	v_mul_f32_e32 v18, v15, v28
	v_dual_mul_f32 v28, v12, v40 :: v_dual_sub_f32 v37, v13, v7
	s_delay_alu instid0(VALU_DEP_4)
	v_sub_f32_e32 v16, v14, v16
	v_fmac_f32_e32 v22, v21, v46
	v_mul_f32_e32 v21, v32, v26
	v_mul_f32_e32 v26, v10, v26
	v_fmac_f32_e32 v18, v17, v27
	v_sub_f32_e32 v4, v45, v4
	v_add_co_u32 v0, vcc_lo, v76, v0
	v_fma_f32 v17, v10, v25, -v21
	v_fma_f32 v10, v12, v39, -v23
	v_mul_f32_e32 v21, v31, v34
	v_mul_f32_e32 v23, v41, v6
	v_fma_f32 v12, v15, v27, -v24
	v_mul_f32_e32 v27, v11, v6
	v_mul_f32_e32 v15, v8, v36
	v_fma_f32 v21, v9, v33, -v21
	v_fma_f32 v23, v11, v5, -v23
	s_wait_alu 0xfffd
	v_add_co_ci_u32_e32 v1, vcc_lo, v77, v1, vcc_lo
	v_fmac_f32_e32 v15, v44, v35
	v_fmac_f32_e32 v27, v5, v41
	v_dual_add_f32 v7, v4, v16 :: v_dual_sub_f32 v38, v22, v38
	v_sub_f32_e32 v23, v21, v23
	v_fmac_f32_e32 v26, v25, v32
	v_mul_f32_e32 v25, v9, v34
	v_fma_f32 v32, v45, 2.0, -v4
	v_fma_f32 v22, v22, 2.0, -v38
	;; [unrolled: 1-line block ×4, first 2 shown]
	v_dual_fmac_f32 v25, v33, v31 :: v_dual_mul_f32 v24, v44, v36
	v_sub_f32_e32 v16, v17, v10
	v_sub_f32_e32 v9, v32, v22
	s_delay_alu instid0(VALU_DEP_3) | instskip(SKIP_3) | instid1(VALU_DEP_4)
	v_dual_sub_f32 v14, v74, v18 :: v_dual_sub_f32 v27, v25, v27
	v_fmac_f32_e32 v28, v39, v42
	v_fma_f32 v24, v8, v35, -v24
	v_lshlrev_b64_e32 v[49:50], 3, v[49:50]
	v_add_f32_e32 v11, v14, v16
	v_add_co_u32 v29, vcc_lo, v76, v29
	s_wait_alu 0xfffd
	v_add_co_ci_u32_e32 v30, vcc_lo, v77, v30, vcc_lo
	v_lshlrev_b64_e32 v[51:52], 3, v[51:52]
	v_add_co_u32 v47, vcc_lo, v76, v47
	v_fma_f32 v22, v74, 2.0, -v14
	v_sub_f32_e32 v18, v20, v12
	v_sub_f32_e32 v12, v26, v28
	v_sub_f32_e32 v28, v75, v15
	v_sub_f32_e32 v24, v19, v24
	s_wait_alu 0xfffd
	v_add_co_ci_u32_e32 v48, vcc_lo, v77, v48, vcc_lo
	v_add_co_u32 v49, vcc_lo, v76, v49
	s_wait_alu 0xfffd
	v_add_co_ci_u32_e32 v50, vcc_lo, v77, v50, vcc_lo
	v_add_co_u32 v51, vcc_lo, v76, v51
	v_sub_f32_e32 v8, v34, v13
	v_fma_f32 v31, v19, 2.0, -v24
	v_add_f32_e32 v19, v28, v23
	v_fma_f32 v26, v26, 2.0, -v12
	s_wait_alu 0xfffd
	v_add_co_ci_u32_e32 v52, vcc_lo, v77, v52, vcc_lo
	v_add_co_u32 v53, vcc_lo, v76, v53
	s_wait_alu 0xfffd
	v_add_co_ci_u32_e32 v54, vcc_lo, v77, v54, vcc_lo
	v_fma_f32 v16, v17, 2.0, -v16
	v_sub_f32_e32 v17, v22, v26
	v_sub_f32_e32 v10, v18, v12
	v_fma_f32 v13, v32, 2.0, -v9
	v_fma_f32 v12, v34, 2.0, -v8
	v_fma_f32 v26, v75, 2.0, -v28
	v_fma_f32 v25, v25, 2.0, -v27
	v_sub_f32_e32 v6, v37, v38
	v_fma_f32 v21, v21, 2.0, -v23
	v_add_co_u32 v55, vcc_lo, v76, v55
	s_wait_alu 0xfffd
	v_add_co_ci_u32_e32 v56, vcc_lo, v77, v56, vcc_lo
	v_add_co_u32 v57, vcc_lo, v76, v57
	v_fma_f32 v20, v20, 2.0, -v18
	v_fma_f32 v5, v4, 2.0, -v7
	global_store_b64 v[2:3], v[12:13], off
	v_sub_f32_e32 v3, v26, v25
	v_fma_f32 v4, v37, 2.0, -v6
	v_sub_f32_e32 v2, v31, v21
	s_wait_alu 0xfffd
	v_add_co_ci_u32_e32 v58, vcc_lo, v77, v58, vcc_lo
	v_fma_f32 v15, v14, 2.0, -v11
	v_fma_f32 v14, v18, 2.0, -v10
	v_sub_f32_e32 v18, v24, v27
	v_add_co_u32 v59, vcc_lo, v76, v59
	s_wait_alu 0xfffd
	v_add_co_ci_u32_e32 v60, vcc_lo, v77, v60, vcc_lo
	v_sub_f32_e32 v16, v20, v16
	v_add_co_u32 v61, vcc_lo, v76, v61
	s_clause 0x1
	global_store_b64 v[0:1], v[4:5], off
	global_store_b64 v[29:30], v[8:9], off
	v_fma_f32 v5, v26, 2.0, -v3
	v_fma_f32 v4, v31, 2.0, -v2
	;; [unrolled: 1-line block ×4, first 2 shown]
	s_wait_alu 0xfffd
	v_add_co_ci_u32_e32 v62, vcc_lo, v77, v62, vcc_lo
	v_add_co_u32 v63, vcc_lo, v76, v63
	global_store_b64 v[47:48], v[6:7], off
	v_fma_f32 v7, v22, 2.0, -v17
	v_fma_f32 v6, v20, 2.0, -v16
	s_wait_alu 0xfffd
	v_add_co_ci_u32_e32 v64, vcc_lo, v77, v64, vcc_lo
	s_clause 0x7
	global_store_b64 v[49:50], v[4:5], off
	global_store_b64 v[53:54], v[0:1], off
	;; [unrolled: 1-line block ×8, first 2 shown]
.LBB0_15:
	s_nop 0
	s_sendmsg sendmsg(MSG_DEALLOC_VGPRS)
	s_endpgm
	.section	.rodata,"a",@progbits
	.p2align	6, 0x0
	.amdhsa_kernel fft_rtc_fwd_len2304_factors_6_6_4_4_4_wgs_192_tpt_192_halfLds_sp_op_CI_CI_sbrr_dirReg
		.amdhsa_group_segment_fixed_size 0
		.amdhsa_private_segment_fixed_size 0
		.amdhsa_kernarg_size 104
		.amdhsa_user_sgpr_count 2
		.amdhsa_user_sgpr_dispatch_ptr 0
		.amdhsa_user_sgpr_queue_ptr 0
		.amdhsa_user_sgpr_kernarg_segment_ptr 1
		.amdhsa_user_sgpr_dispatch_id 0
		.amdhsa_user_sgpr_private_segment_size 0
		.amdhsa_wavefront_size32 1
		.amdhsa_uses_dynamic_stack 0
		.amdhsa_enable_private_segment 0
		.amdhsa_system_sgpr_workgroup_id_x 1
		.amdhsa_system_sgpr_workgroup_id_y 0
		.amdhsa_system_sgpr_workgroup_id_z 0
		.amdhsa_system_sgpr_workgroup_info 0
		.amdhsa_system_vgpr_workitem_id 0
		.amdhsa_next_free_vgpr 82
		.amdhsa_next_free_sgpr 43
		.amdhsa_reserve_vcc 1
		.amdhsa_float_round_mode_32 0
		.amdhsa_float_round_mode_16_64 0
		.amdhsa_float_denorm_mode_32 3
		.amdhsa_float_denorm_mode_16_64 3
		.amdhsa_fp16_overflow 0
		.amdhsa_workgroup_processor_mode 1
		.amdhsa_memory_ordered 1
		.amdhsa_forward_progress 0
		.amdhsa_round_robin_scheduling 0
		.amdhsa_exception_fp_ieee_invalid_op 0
		.amdhsa_exception_fp_denorm_src 0
		.amdhsa_exception_fp_ieee_div_zero 0
		.amdhsa_exception_fp_ieee_overflow 0
		.amdhsa_exception_fp_ieee_underflow 0
		.amdhsa_exception_fp_ieee_inexact 0
		.amdhsa_exception_int_div_zero 0
	.end_amdhsa_kernel
	.text
.Lfunc_end0:
	.size	fft_rtc_fwd_len2304_factors_6_6_4_4_4_wgs_192_tpt_192_halfLds_sp_op_CI_CI_sbrr_dirReg, .Lfunc_end0-fft_rtc_fwd_len2304_factors_6_6_4_4_4_wgs_192_tpt_192_halfLds_sp_op_CI_CI_sbrr_dirReg
                                        ; -- End function
	.section	.AMDGPU.csdata,"",@progbits
; Kernel info:
; codeLenInByte = 8544
; NumSgprs: 45
; NumVgprs: 82
; ScratchSize: 0
; MemoryBound: 0
; FloatMode: 240
; IeeeMode: 1
; LDSByteSize: 0 bytes/workgroup (compile time only)
; SGPRBlocks: 5
; VGPRBlocks: 10
; NumSGPRsForWavesPerEU: 45
; NumVGPRsForWavesPerEU: 82
; Occupancy: 15
; WaveLimiterHint : 1
; COMPUTE_PGM_RSRC2:SCRATCH_EN: 0
; COMPUTE_PGM_RSRC2:USER_SGPR: 2
; COMPUTE_PGM_RSRC2:TRAP_HANDLER: 0
; COMPUTE_PGM_RSRC2:TGID_X_EN: 1
; COMPUTE_PGM_RSRC2:TGID_Y_EN: 0
; COMPUTE_PGM_RSRC2:TGID_Z_EN: 0
; COMPUTE_PGM_RSRC2:TIDIG_COMP_CNT: 0
	.text
	.p2alignl 7, 3214868480
	.fill 96, 4, 3214868480
	.type	__hip_cuid_93b25c9f3952985b,@object ; @__hip_cuid_93b25c9f3952985b
	.section	.bss,"aw",@nobits
	.globl	__hip_cuid_93b25c9f3952985b
__hip_cuid_93b25c9f3952985b:
	.byte	0                               ; 0x0
	.size	__hip_cuid_93b25c9f3952985b, 1

	.ident	"AMD clang version 19.0.0git (https://github.com/RadeonOpenCompute/llvm-project roc-6.4.0 25133 c7fe45cf4b819c5991fe208aaa96edf142730f1d)"
	.section	".note.GNU-stack","",@progbits
	.addrsig
	.addrsig_sym __hip_cuid_93b25c9f3952985b
	.amdgpu_metadata
---
amdhsa.kernels:
  - .args:
      - .actual_access:  read_only
        .address_space:  global
        .offset:         0
        .size:           8
        .value_kind:     global_buffer
      - .offset:         8
        .size:           8
        .value_kind:     by_value
      - .actual_access:  read_only
        .address_space:  global
        .offset:         16
        .size:           8
        .value_kind:     global_buffer
      - .actual_access:  read_only
        .address_space:  global
        .offset:         24
        .size:           8
        .value_kind:     global_buffer
      - .actual_access:  read_only
        .address_space:  global
        .offset:         32
        .size:           8
        .value_kind:     global_buffer
      - .offset:         40
        .size:           8
        .value_kind:     by_value
      - .actual_access:  read_only
        .address_space:  global
        .offset:         48
        .size:           8
        .value_kind:     global_buffer
      - .actual_access:  read_only
        .address_space:  global
        .offset:         56
        .size:           8
        .value_kind:     global_buffer
      - .offset:         64
        .size:           4
        .value_kind:     by_value
      - .actual_access:  read_only
        .address_space:  global
        .offset:         72
        .size:           8
        .value_kind:     global_buffer
      - .actual_access:  read_only
        .address_space:  global
        .offset:         80
        .size:           8
        .value_kind:     global_buffer
      - .actual_access:  read_only
        .address_space:  global
        .offset:         88
        .size:           8
        .value_kind:     global_buffer
      - .actual_access:  write_only
        .address_space:  global
        .offset:         96
        .size:           8
        .value_kind:     global_buffer
    .group_segment_fixed_size: 0
    .kernarg_segment_align: 8
    .kernarg_segment_size: 104
    .language:       OpenCL C
    .language_version:
      - 2
      - 0
    .max_flat_workgroup_size: 192
    .name:           fft_rtc_fwd_len2304_factors_6_6_4_4_4_wgs_192_tpt_192_halfLds_sp_op_CI_CI_sbrr_dirReg
    .private_segment_fixed_size: 0
    .sgpr_count:     45
    .sgpr_spill_count: 0
    .symbol:         fft_rtc_fwd_len2304_factors_6_6_4_4_4_wgs_192_tpt_192_halfLds_sp_op_CI_CI_sbrr_dirReg.kd
    .uniform_work_group_size: 1
    .uses_dynamic_stack: false
    .vgpr_count:     82
    .vgpr_spill_count: 0
    .wavefront_size: 32
    .workgroup_processor_mode: 1
amdhsa.target:   amdgcn-amd-amdhsa--gfx1201
amdhsa.version:
  - 1
  - 2
...

	.end_amdgpu_metadata
